;; amdgpu-corpus repo=ROCm/rocFFT kind=compiled arch=gfx1030 opt=O3
	.text
	.amdgcn_target "amdgcn-amd-amdhsa--gfx1030"
	.amdhsa_code_object_version 6
	.protected	bluestein_single_back_len2400_dim1_sp_op_CI_CI ; -- Begin function bluestein_single_back_len2400_dim1_sp_op_CI_CI
	.globl	bluestein_single_back_len2400_dim1_sp_op_CI_CI
	.p2align	8
	.type	bluestein_single_back_len2400_dim1_sp_op_CI_CI,@function
bluestein_single_back_len2400_dim1_sp_op_CI_CI: ; @bluestein_single_back_len2400_dim1_sp_op_CI_CI
; %bb.0:
	s_load_dwordx4 s[8:11], s[4:5], 0x28
	v_mul_u32_u24_e32 v1, 0x112, v0
	v_mov_b32_e32 v67, 0
	s_mov_b32 s0, exec_lo
	v_lshrrev_b32_e32 v1, 16, v1
	v_add_nc_u32_e32 v66, s6, v1
	s_waitcnt lgkmcnt(0)
	v_cmpx_gt_u64_e64 s[8:9], v[66:67]
	s_cbranch_execz .LBB0_23
; %bb.1:
	s_clause 0x1
	s_load_dwordx4 s[0:3], s[4:5], 0x18
	s_load_dwordx2 s[6:7], s[4:5], 0x0
	v_mul_lo_u16 v1, 0xf0, v1
	v_sub_nc_u16 v22, v0, v1
	v_and_b32_e32 v102, 0xffff, v22
	v_lshlrev_b32_e32 v99, 3, v102
	s_waitcnt lgkmcnt(0)
	s_load_dwordx4 s[12:15], s[0:1], 0x0
	s_clause 0x1
	global_load_dwordx2 v[67:68], v99, s[6:7]
	global_load_dwordx2 v[71:72], v99, s[6:7] offset:1920
	v_add_co_u32 v100, s0, s6, v99
	v_add_co_ci_u32_e64 v101, null, s7, 0, s0
	v_add_co_u32 v0, vcc_lo, 0x1000, v100
	v_add_co_ci_u32_e32 v1, vcc_lo, 0, v101, vcc_lo
	v_add_co_u32 v64, vcc_lo, 0x2000, v100
	v_add_co_ci_u32_e32 v65, vcc_lo, 0, v101, vcc_lo
	;; [unrolled: 2-line block ×3, first 2 shown]
	s_waitcnt lgkmcnt(0)
	v_mad_u64_u32 v[2:3], null, s14, v66, 0
	v_mad_u64_u32 v[6:7], null, s12, v102, 0
	v_add_co_u32 v8, vcc_lo, 0x1800, v100
	s_clause 0x1
	global_load_dwordx2 v[81:82], v[0:1], off offset:704
	global_load_dwordx2 v[79:80], v[64:65], off offset:1408
	v_add_co_ci_u32_e32 v9, vcc_lo, 0, v101, vcc_lo
	v_mad_u64_u32 v[12:13], null, s15, v66, v[3:4]
	v_mad_u64_u32 v[0:1], null, s13, v102, v[7:8]
	v_add_co_u32 v10, vcc_lo, 0x2800, v100
	v_add_co_ci_u32_e32 v11, vcc_lo, 0, v101, vcc_lo
	v_mov_b32_e32 v3, v12
	s_mul_i32 s1, s13, 0x258
	v_mov_b32_e32 v7, v0
	s_mul_hi_u32 s6, s12, 0x258
	s_mul_i32 s0, s12, 0x258
	v_lshlrev_b64 v[0:1], 3, v[2:3]
	s_mul_hi_u32 s7, s12, 0xfffff9e8
	v_lshlrev_b64 v[2:3], 3, v[6:7]
	s_add_i32 s1, s6, s1
	s_mul_i32 s9, s13, 0xfffff9e8
	s_clause 0x1
	global_load_dwordx2 v[77:78], v[4:5], off offset:64
	global_load_dwordx2 v[69:70], v[8:9], off offset:576
	v_add_co_u32 v0, vcc_lo, s10, v0
	v_add_co_ci_u32_e32 v1, vcc_lo, s11, v1, vcc_lo
	s_sub_i32 s10, s7, s12
	v_add_co_u32 v0, vcc_lo, v0, v2
	v_add_co_ci_u32_e32 v1, vcc_lo, v1, v3, vcc_lo
	s_lshl_b64 s[6:7], s[0:1], 3
	s_mul_i32 s8, s12, 0xfffff9e8
	v_add_co_u32 v2, vcc_lo, v0, s6
	v_add_co_ci_u32_e32 v3, vcc_lo, s7, v1, vcc_lo
	s_add_i32 s9, s10, s9
	v_add_co_u32 v6, vcc_lo, v2, s6
	v_add_co_ci_u32_e32 v7, vcc_lo, s7, v3, vcc_lo
	s_clause 0x1
	global_load_dwordx2 v[8:9], v[0:1], off
	global_load_dwordx2 v[2:3], v[2:3], off
	v_add_co_u32 v0, vcc_lo, v6, s6
	v_add_co_ci_u32_e32 v1, vcc_lo, s7, v7, vcc_lo
	s_lshl_b64 s[0:1], s[8:9], 3
	s_clause 0x1
	global_load_dwordx2 v[6:7], v[6:7], off
	global_load_dwordx2 v[14:15], v[0:1], off
	v_add_co_u32 v12, vcc_lo, v0, s0
	v_add_co_ci_u32_e32 v13, vcc_lo, s1, v1, vcc_lo
	s_load_dwordx2 s[12:13], s[4:5], 0x38
	v_add_co_u32 v0, vcc_lo, v12, s6
	v_add_co_ci_u32_e32 v1, vcc_lo, s7, v13, vcc_lo
	global_load_dwordx2 v[12:13], v[12:13], off
	v_add_co_u32 v16, vcc_lo, v0, s6
	v_add_co_ci_u32_e32 v17, vcc_lo, s7, v1, vcc_lo
	global_load_dwordx2 v[18:19], v[0:1], off
	v_add_co_u32 v0, vcc_lo, v16, s6
	v_add_co_ci_u32_e32 v1, vcc_lo, s7, v17, vcc_lo
	global_load_dwordx2 v[73:74], v[10:11], off offset:1280
	global_load_dwordx2 v[10:11], v[16:17], off
	global_load_dwordx2 v[75:76], v[4:5], off offset:1984
	global_load_dwordx2 v[4:5], v[0:1], off
	s_load_dwordx4 s[8:11], s[2:3], 0x0
	v_cmp_gt_u16_e32 vcc_lo, 0x78, v22
	s_waitcnt vmcnt(9)
	v_mul_f32_e32 v16, v9, v68
	s_waitcnt vmcnt(8)
	v_mul_f32_e32 v20, v3, v82
	v_mul_f32_e32 v21, v2, v82
	;; [unrolled: 1-line block ×3, first 2 shown]
	v_fmac_f32_e32 v16, v8, v67
	v_fmac_f32_e32 v20, v2, v81
	v_fma_f32 v21, v3, v81, -v21
	s_waitcnt vmcnt(7)
	v_mul_f32_e32 v2, v7, v80
	v_mul_f32_e32 v3, v6, v80
	v_fma_f32 v17, v9, v67, -v17
	s_waitcnt vmcnt(6)
	v_mul_f32_e32 v8, v15, v78
	v_mul_f32_e32 v9, v14, v78
	v_fmac_f32_e32 v2, v6, v79
	v_fma_f32 v3, v7, v79, -v3
	ds_write_b64 v99, v[20:21] offset:4800
	v_fmac_f32_e32 v8, v14, v77
	v_fma_f32 v9, v15, v77, -v9
	s_waitcnt vmcnt(5)
	v_mul_f32_e32 v6, v13, v72
	v_mul_f32_e32 v7, v12, v72
	ds_write_b64 v99, v[2:3] offset:9600
	ds_write_b64 v99, v[8:9] offset:14400
	s_waitcnt vmcnt(4)
	v_mul_f32_e32 v2, v19, v70
	v_mul_f32_e32 v3, v18, v70
	v_fmac_f32_e32 v6, v12, v71
	s_waitcnt vmcnt(2)
	v_mul_f32_e32 v8, v11, v74
	v_mul_f32_e32 v9, v10, v74
	v_fma_f32 v7, v13, v71, -v7
	s_waitcnt vmcnt(0)
	v_mul_f32_e32 v12, v5, v76
	v_mul_f32_e32 v13, v4, v76
	v_fmac_f32_e32 v2, v18, v69
	v_fma_f32 v3, v19, v69, -v3
	v_fmac_f32_e32 v8, v10, v73
	v_fma_f32 v9, v11, v73, -v9
	;; [unrolled: 2-line block ×3, first 2 shown]
	ds_write2_b64 v99, v[16:17], v[6:7] offset1:240
	ds_write_b64 v99, v[2:3] offset:6720
	ds_write_b64 v99, v[8:9] offset:11520
	;; [unrolled: 1-line block ×3, first 2 shown]
	s_and_saveexec_b32 s2, vcc_lo
	s_cbranch_execz .LBB0_3
; %bb.2:
	v_add_co_u32 v0, s0, v0, s0
	v_add_co_ci_u32_e64 v1, s0, s1, v1, s0
	v_add_co_u32 v2, s0, 0x800, v100
	v_add_co_ci_u32_e64 v3, s0, 0, v101, s0
	;; [unrolled: 2-line block ×3, first 2 shown]
	global_load_dwordx2 v[0:1], v[0:1], off
	global_load_dwordx2 v[2:3], v[2:3], off offset:1792
	global_load_dwordx2 v[6:7], v[4:5], off
	global_load_dwordx2 v[8:9], v[64:65], off offset:448
	v_add_co_u32 v4, s0, v4, s6
	v_add_co_ci_u32_e64 v5, s0, s7, v5, s0
	v_add_co_u32 v10, s0, 0x3000, v100
	v_add_co_ci_u32_e64 v11, s0, 0, v101, s0
	;; [unrolled: 2-line block ×4, first 2 shown]
	global_load_dwordx2 v[4:5], v[4:5], off
	s_clause 0x1
	global_load_dwordx2 v[10:11], v[10:11], off offset:1152
	global_load_dwordx2 v[12:13], v[12:13], off offset:1856
	global_load_dwordx2 v[14:15], v[14:15], off
	s_waitcnt vmcnt(6)
	v_mul_f32_e32 v16, v1, v3
	v_mul_f32_e32 v3, v0, v3
	s_waitcnt vmcnt(4)
	v_mul_f32_e32 v18, v7, v9
	v_fmac_f32_e32 v16, v0, v2
	v_fma_f32 v17, v1, v2, -v3
	v_mul_f32_e32 v1, v6, v9
	v_fmac_f32_e32 v18, v6, v8
	v_fma_f32 v19, v7, v8, -v1
	s_waitcnt vmcnt(2)
	v_mul_f32_e32 v0, v5, v11
	v_mul_f32_e32 v3, v4, v11
	s_waitcnt vmcnt(0)
	v_mul_f32_e32 v2, v15, v13
	v_mul_f32_e32 v6, v14, v13
	v_fmac_f32_e32 v0, v4, v10
	v_fma_f32 v1, v5, v10, -v3
	v_fmac_f32_e32 v2, v14, v12
	v_fma_f32 v3, v15, v12, -v6
	ds_write_b64 v99, v[16:17] offset:3840
	ds_write_b64 v99, v[18:19] offset:8640
	;; [unrolled: 1-line block ×4, first 2 shown]
.LBB0_3:
	s_or_b32 exec_lo, exec_lo, s2
	v_add_nc_u32_e32 v0, 0x1280, v99
	v_add_nc_u32_e32 v8, 0x2580, v99
	v_add_nc_u32_e32 v9, 0x3800, v99
	s_waitcnt lgkmcnt(0)
	s_barrier
	buffer_gl0_inv
	ds_read2_b64 v[4:7], v99 offset1:240
	ds_read2_b64 v[0:3], v0 offset0:8 offset1:248
	ds_read2_b64 v[12:15], v8 offset1:240
	ds_read2_b64 v[8:11], v9 offset0:8 offset1:248
                                        ; implicit-def: $vgpr22
                                        ; implicit-def: $vgpr20
                                        ; implicit-def: $vgpr18
                                        ; implicit-def: $vgpr16
	s_and_saveexec_b32 s0, vcc_lo
	s_cbranch_execz .LBB0_5
; %bb.4:
	ds_read_b64 v[16:17], v99 offset:3840
	ds_read_b64 v[18:19], v99 offset:8640
	;; [unrolled: 1-line block ×4, first 2 shown]
.LBB0_5:
	s_or_b32 exec_lo, exec_lo, s0
	s_waitcnt lgkmcnt(1)
	v_sub_f32_e32 v24, v4, v12
	s_waitcnt lgkmcnt(0)
	v_sub_f32_e32 v12, v0, v8
	v_sub_f32_e32 v25, v5, v13
	;; [unrolled: 1-line block ×4, first 2 shown]
	v_fma_f32 v8, v4, 2.0, -v24
	v_fma_f32 v0, v0, 2.0, -v12
	;; [unrolled: 1-line block ×4, first 2 shown]
	v_sub_f32_e32 v27, v6, v14
	v_sub_f32_e32 v15, v2, v10
	;; [unrolled: 1-line block ×4, first 2 shown]
	v_fma_f32 v14, v7, 2.0, -v29
	v_sub_f32_e32 v5, v26, v1
	v_fma_f32 v1, v6, 2.0, -v27
	v_fma_f32 v2, v2, 2.0, -v15
	;; [unrolled: 1-line block ×3, first 2 shown]
	v_add_f32_e32 v7, v25, v12
	s_load_dwordx2 s[2:3], s[4:5], 0x8
	v_sub_f32_e32 v6, v24, v9
	v_sub_f32_e32 v12, v1, v2
	;; [unrolled: 1-line block ×3, first 2 shown]
	v_fma_f32 v11, v25, 2.0, -v7
	v_sub_f32_e32 v2, v17, v21
	v_fma_f32 v10, v24, 2.0, -v6
	v_fma_f32 v24, v1, 2.0, -v12
	;; [unrolled: 1-line block ×3, first 2 shown]
	v_sub_f32_e32 v14, v27, v0
	v_sub_f32_e32 v0, v16, v20
	;; [unrolled: 1-line block ×4, first 2 shown]
	v_add_co_u32 v32, null, 0xf0, v102
	v_fma_f32 v1, v16, 2.0, -v0
	v_fma_f32 v16, v18, 2.0, -v20
	v_add_co_u32 v28, null, 0x1e0, v102
	v_fma_f32 v3, v17, 2.0, -v2
	v_fma_f32 v17, v19, 2.0, -v21
	v_sub_f32_e32 v48, v1, v16
	v_lshlrev_b16 v16, 2, v102
	v_mov_b32_e32 v18, 3
	v_add_f32_e32 v15, v29, v15
	v_fma_f32 v8, v8, 2.0, -v4
	v_fma_f32 v9, v26, 2.0, -v5
	v_sub_f32_e32 v49, v3, v17
	v_sub_f32_e32 v50, v0, v21
	v_add_f32_e32 v51, v20, v2
	v_lshlrev_b32_sdwa v105, v18, v16 dst_sel:DWORD dst_unused:UNUSED_PAD src0_sel:DWORD src1_sel:WORD_0
	v_lshlrev_b32_e32 v106, 5, v32
	v_lshlrev_b32_e32 v104, 5, v28
	v_fma_f32 v26, v27, 2.0, -v14
	v_fma_f32 v27, v29, 2.0, -v15
	s_waitcnt lgkmcnt(0)
	s_barrier
	buffer_gl0_inv
	ds_write_b128 v105, v[8:11]
	ds_write_b128 v105, v[4:7] offset:16
	ds_write_b128 v106, v[24:27]
	ds_write_b128 v106, v[12:15] offset:16
	s_and_saveexec_b32 s0, vcc_lo
	s_cbranch_execz .LBB0_7
; %bb.6:
	v_fma_f32 v5, v2, 2.0, -v51
	v_fma_f32 v4, v0, 2.0, -v50
	v_fma_f32 v3, v3, 2.0, -v49
	v_fma_f32 v2, v1, 2.0, -v48
	ds_write_b128 v104, v[2:5]
	ds_write_b128 v104, v[48:51] offset:16
.LBB0_7:
	s_or_b32 exec_lo, exec_lo, s0
	v_and_b32_e32 v37, 3, v102
	s_waitcnt lgkmcnt(0)
	s_barrier
	buffer_gl0_inv
	v_add_nc_u32_e32 v39, 0xf00, v99
	v_mad_u64_u32 v[16:17], null, 0x48, v37, s[2:3]
	v_add_nc_u32_e32 v42, 0x1e00, v99
	v_lshrrev_b32_e32 v28, 2, v102
	v_add_nc_u32_e32 v45, 0x2d00, v99
	v_add_nc_u32_e32 v46, 0x3c00, v99
	v_cmp_gt_u16_e64 s0, 0xa0, v102
	s_clause 0x4
	global_load_dwordx4 v[12:15], v[16:17], off
	global_load_dwordx4 v[8:11], v[16:17], off offset:16
	global_load_dwordx4 v[4:7], v[16:17], off offset:32
	;; [unrolled: 1-line block ×3, first 2 shown]
	global_load_dwordx2 v[83:84], v[16:17], off offset:64
	v_and_b32_e32 v16, 0xff, v102
	ds_read2_b64 v[24:27], v42 offset1:240
	v_mul_u32_u24_e32 v38, 40, v28
	v_mul_lo_u16 v20, 0xcd, v16
	ds_read2_b64 v[16:19], v99 offset1:240
	v_or_b32_e32 v37, v38, v37
	v_lshrrev_b16 v41, 13, v20
	ds_read2_b64 v[20:23], v39 offset1:240
	v_lshlrev_b32_e32 v103, 3, v37
	v_mul_lo_u16 v29, v41, 40
	v_sub_nc_u16 v40, v102, v29
	ds_read2_b64 v[28:31], v45 offset1:240
	ds_read2_b64 v[33:36], v46 offset1:240
	s_waitcnt vmcnt(0) lgkmcnt(0)
	s_barrier
	buffer_gl0_inv
	v_and_b32_e32 v47, 0xff, v40
	v_mad_u64_u32 v[37:38], null, 0x48, v47, s[2:3]
	v_mul_f32_e32 v40, v19, v13
	v_mul_f32_e32 v43, v18, v13
	;; [unrolled: 1-line block ×18, first 2 shown]
	v_fma_f32 v40, v18, v12, -v40
	v_fmac_f32_e32 v43, v19, v12
	v_fma_f32 v18, v20, v14, -v44
	v_fmac_f32_e32 v52, v21, v14
	;; [unrolled: 2-line block ×9, first 2 shown]
	v_sub_f32_e32 v30, v18, v20
	v_sub_f32_e32 v31, v24, v22
	;; [unrolled: 1-line block ×3, first 2 shown]
	v_add_f32_e32 v36, v17, v52
	v_add_f32_e32 v44, v56, v60
	v_sub_f32_e32 v55, v52, v56
	v_add_f32_e32 v59, v52, v85
	v_sub_f32_e32 v52, v56, v52
	v_sub_f32_e32 v61, v60, v85
	v_add_f32_e32 v63, v40, v19
	v_add_f32_e32 v86, v21, v23
	v_add_f32_e32 v96, v58, v62
	v_add_f32_e32 v26, v16, v18
	v_add_f32_e32 v27, v20, v22
	v_add_f32_e32 v33, v18, v24
	v_add_f32_e32 v92, v19, v25
	v_add_f32_e32 v95, v43, v54
	v_add_f32_e32 v108, v54, v87
	v_sub_f32_e32 v88, v54, v87
	v_sub_f32_e32 v90, v19, v21
	;; [unrolled: 1-line block ×5, first 2 shown]
	v_fma_f32 v44, -0.5, v44, v17
	v_fma_f32 v59, -0.5, v59, v17
	v_add_f32_e32 v17, v30, v31
	v_add_f32_e32 v30, v52, v61
	;; [unrolled: 1-line block ×3, first 2 shown]
	v_fma_f32 v31, -0.5, v86, v40
	v_fma_f32 v52, -0.5, v96, v43
	v_sub_f32_e32 v89, v58, v62
	v_fma_f32 v110, -0.5, v27, v16
	v_fma_f32 v33, -0.5, v33, v16
	v_add_f32_e32 v16, v26, v20
	v_add_f32_e32 v26, v36, v56
	v_fmac_f32_e32 v40, -0.5, v92
	v_add_f32_e32 v36, v95, v58
	v_fmac_f32_e32 v43, -0.5, v108
	v_sub_f32_e32 v34, v20, v18
	v_sub_f32_e32 v35, v22, v24
	;; [unrolled: 1-line block ×7, first 2 shown]
	v_add_f32_e32 v21, v21, v23
	v_fmamk_f32 v23, v88, 0x3f737871, v31
	v_fmamk_f32 v61, v19, 0xbf737871, v52
	v_sub_f32_e32 v29, v56, v60
	v_sub_f32_e32 v53, v20, v22
	;; [unrolled: 1-line block ×4, first 2 shown]
	v_add_f32_e32 v16, v16, v22
	v_add_f32_e32 v22, v26, v60
	v_fmamk_f32 v26, v89, 0xbf737871, v40
	v_fmac_f32_e32 v40, 0x3f737871, v89
	v_add_f32_e32 v36, v36, v62
	v_fmamk_f32 v62, v97, 0x3f737871, v43
	v_fmac_f32_e32 v43, 0xbf737871, v97
	v_fmac_f32_e32 v31, 0xbf737871, v88
	;; [unrolled: 1-line block ×3, first 2 shown]
	v_sub_f32_e32 v18, v18, v24
	v_add_f32_e32 v20, v34, v35
	v_add_f32_e32 v27, v55, v57
	;; [unrolled: 1-line block ×4, first 2 shown]
	v_fmac_f32_e32 v23, 0x3f167918, v89
	v_fmac_f32_e32 v61, 0xbf167918, v97
	v_add_f32_e32 v35, v93, v94
	v_add_f32_e32 v54, v54, v109
	v_fmamk_f32 v56, v28, 0x3f737871, v110
	v_fmac_f32_e32 v110, 0xbf737871, v28
	v_fmamk_f32 v57, v29, 0xbf737871, v33
	v_fmac_f32_e32 v33, 0x3f737871, v29
	;; [unrolled: 2-line block ×3, first 2 shown]
	v_fmac_f32_e32 v26, 0x3f167918, v88
	v_fmac_f32_e32 v40, 0xbf167918, v88
	v_fmac_f32_e32 v62, 0xbf167918, v19
	v_fmac_f32_e32 v43, 0x3f167918, v19
	v_fmac_f32_e32 v31, 0xbf167918, v89
	v_fmac_f32_e32 v52, 0x3f167918, v97
	v_fmamk_f32 v58, v18, 0xbf737871, v44
	v_fmac_f32_e32 v23, 0x3e9e377a, v34
	v_fmac_f32_e32 v61, 0x3e9e377a, v55
	v_fmac_f32_e32 v44, 0x3f737871, v18
	v_fmac_f32_e32 v56, 0x3f167918, v29
	v_fmac_f32_e32 v110, 0xbf167918, v29
	v_fmac_f32_e32 v57, 0x3f167918, v28
	v_fmac_f32_e32 v33, 0xbf167918, v28
	v_add_f32_e32 v22, v22, v85
	v_fmac_f32_e32 v60, 0xbf167918, v18
	v_fmac_f32_e32 v59, 0x3f167918, v18
	v_add_f32_e32 v18, v21, v25
	v_add_f32_e32 v21, v36, v87
	v_fmac_f32_e32 v26, 0x3e9e377a, v35
	v_fmac_f32_e32 v40, 0x3e9e377a, v35
	;; [unrolled: 1-line block ×4, first 2 shown]
	v_add_f32_e32 v24, v16, v24
	v_fmac_f32_e32 v31, 0x3e9e377a, v34
	v_fmac_f32_e32 v52, 0x3e9e377a, v55
	;; [unrolled: 1-line block ×3, first 2 shown]
	v_mul_f32_e32 v28, 0x3f167918, v61
	v_mul_f32_e32 v34, 0xbf167918, v23
	v_fmac_f32_e32 v56, 0x3e9e377a, v17
	v_fmac_f32_e32 v110, 0x3e9e377a, v17
	;; [unrolled: 1-line block ×4, first 2 shown]
	v_add_f32_e32 v17, v22, v21
	v_sub_f32_e32 v19, v22, v21
	v_mul_f32_e32 v29, 0x3f737871, v62
	v_mul_f32_e32 v20, 0x3e9e377a, v40
	;; [unrolled: 1-line block ×4, first 2 shown]
	v_fmac_f32_e32 v44, 0x3f167918, v53
	v_add_f32_e32 v16, v24, v18
	v_sub_f32_e32 v18, v24, v18
	v_mul_f32_e32 v21, 0x3f4f1bbd, v31
	v_mul_f32_e32 v24, 0x3f4f1bbd, v52
	v_fmac_f32_e32 v58, 0x3e9e377a, v27
	v_fmac_f32_e32 v28, 0x3f4f1bbd, v23
	;; [unrolled: 1-line block ×6, first 2 shown]
	v_fma_f32 v35, 0x3f737871, v43, -v20
	v_fmac_f32_e32 v36, 0x3e9e377a, v62
	v_fma_f32 v40, 0xbf737871, v40, -v22
	v_fmac_f32_e32 v44, 0x3e9e377a, v27
	v_fma_f32 v43, 0x3f167918, v52, -v21
	v_fma_f32 v52, 0xbf167918, v31, -v24
	v_add_f32_e32 v20, v56, v28
	v_add_f32_e32 v21, v58, v34
	;; [unrolled: 1-line block ×8, first 2 shown]
	v_sub_f32_e32 v28, v56, v28
	v_sub_f32_e32 v30, v57, v29
	;; [unrolled: 1-line block ×8, first 2 shown]
	ds_write2_b64 v103, v[16:17], v[20:21] offset1:4
	ds_write2_b64 v103, v[22:23], v[24:25] offset0:8 offset1:12
	ds_write2_b64 v103, v[26:27], v[18:19] offset0:16 offset1:20
	;; [unrolled: 1-line block ×4, first 2 shown]
	s_waitcnt lgkmcnt(0)
	s_barrier
	buffer_gl0_inv
	s_clause 0x4
	global_load_dwordx4 v[28:31], v[37:38], off offset:288
	global_load_dwordx4 v[24:27], v[37:38], off offset:304
	;; [unrolled: 1-line block ×4, first 2 shown]
	global_load_dwordx2 v[85:86], v[37:38], off offset:352
	v_mov_b32_e32 v43, 0x190
	ds_read2_b64 v[33:36], v99 offset1:240
	ds_read2_b64 v[37:40], v39 offset1:240
	v_mul_u32_u24_sdwa v52, v41, v43 dst_sel:DWORD dst_unused:UNUSED_PAD src0_sel:WORD_0 src1_sel:DWORD
	ds_read2_b64 v[41:44], v42 offset1:240
	v_add_lshl_u32 v107, v52, v47, 3
	ds_read2_b64 v[52:55], v45 offset1:240
	ds_read2_b64 v[56:59], v46 offset1:240
	s_waitcnt vmcnt(0) lgkmcnt(0)
	s_barrier
	buffer_gl0_inv
	v_add_nc_u32_e32 v45, 0x400, v107
	v_add_nc_u32_e32 v46, 0x800, v107
	v_mul_f32_e32 v47, v36, v29
	v_mul_f32_e32 v60, v35, v29
	;; [unrolled: 1-line block ×18, first 2 shown]
	v_fma_f32 v37, v37, v30, -v61
	v_fmac_f32_e32 v62, v38, v30
	v_fma_f32 v38, v39, v24, -v63
	v_fmac_f32_e32 v87, v40, v24
	v_fma_f32 v39, v35, v28, -v47
	v_fmac_f32_e32 v60, v36, v28
	v_fma_f32 v35, v41, v26, -v88
	v_fmac_f32_e32 v89, v42, v26
	v_fma_f32 v36, v43, v20, -v90
	v_fmac_f32_e32 v91, v44, v20
	v_fma_f32 v40, v52, v22, -v92
	v_fmac_f32_e32 v93, v53, v22
	v_fma_f32 v41, v54, v16, -v94
	v_fmac_f32_e32 v95, v55, v16
	v_fma_f32 v42, v56, v18, -v96
	v_fmac_f32_e32 v97, v57, v18
	v_fma_f32 v43, v58, v85, -v98
	v_fmac_f32_e32 v108, v59, v85
	v_add_f32_e32 v44, v33, v37
	v_add_f32_e32 v47, v35, v40
	v_sub_f32_e32 v52, v37, v35
	v_sub_f32_e32 v53, v42, v40
	v_add_f32_e32 v54, v37, v42
	v_sub_f32_e32 v55, v35, v37
	v_sub_f32_e32 v56, v40, v42
	v_add_f32_e32 v57, v34, v62
	v_add_f32_e32 v58, v89, v93
	v_sub_f32_e32 v59, v62, v89
	v_sub_f32_e32 v61, v97, v93
	v_add_f32_e32 v63, v62, v97
	v_add_f32_e32 v94, v36, v41
	;; [unrolled: 1-line block ×6, first 2 shown]
	v_sub_f32_e32 v96, v38, v36
	v_sub_f32_e32 v110, v36, v38
	;; [unrolled: 1-line block ×3, first 2 shown]
	v_add_f32_e32 v116, v60, v87
	v_sub_f32_e32 v117, v91, v87
	v_sub_f32_e32 v119, v35, v40
	;; [unrolled: 1-line block ×4, first 2 shown]
	v_fma_f32 v47, -0.5, v47, v33
	v_fma_f32 v54, -0.5, v54, v33
	v_fma_f32 v123, -0.5, v58, v34
	v_fma_f32 v63, -0.5, v63, v34
	v_add_f32_e32 v33, v52, v53
	v_add_f32_e32 v34, v55, v56
	;; [unrolled: 1-line block ×3, first 2 shown]
	v_fma_f32 v56, -0.5, v94, v39
	v_fma_f32 v61, -0.5, v114, v60
	v_add_f32_e32 v35, v44, v35
	v_add_f32_e32 v44, v57, v89
	v_sub_f32_e32 v88, v89, v62
	v_sub_f32_e32 v90, v93, v97
	;; [unrolled: 1-line block ×4, first 2 shown]
	v_fmac_f32_e32 v39, -0.5, v109
	v_fmac_f32_e32 v60, -0.5, v115
	v_sub_f32_e32 v98, v43, v41
	v_sub_f32_e32 v113, v108, v95
	;; [unrolled: 1-line block ×4, first 2 shown]
	v_add_f32_e32 v35, v35, v40
	v_add_f32_e32 v40, v44, v93
	v_fmamk_f32 v44, v87, 0x3f737871, v56
	v_fmamk_f32 v93, v38, 0xbf737871, v61
	v_sub_f32_e32 v111, v41, v43
	v_sub_f32_e32 v118, v95, v108
	;; [unrolled: 1-line block ×3, first 2 shown]
	v_add_f32_e32 v53, v88, v90
	v_add_f32_e32 v36, v92, v36
	;; [unrolled: 1-line block ×3, first 2 shown]
	v_fmac_f32_e32 v56, 0xbf737871, v87
	v_fmamk_f32 v92, v121, 0xbf737871, v39
	v_fmac_f32_e32 v39, 0x3f737871, v121
	v_fmamk_f32 v94, v122, 0x3f737871, v60
	v_fmac_f32_e32 v60, 0xbf737871, v122
	v_fmac_f32_e32 v61, 0x3f737871, v38
	v_add_f32_e32 v55, v96, v98
	v_add_f32_e32 v59, v112, v113
	v_fmamk_f32 v90, v37, 0xbf737871, v123
	v_fmac_f32_e32 v123, 0x3f737871, v37
	v_fmac_f32_e32 v44, 0x3f167918, v121
	;; [unrolled: 1-line block ×3, first 2 shown]
	v_add_f32_e32 v58, v110, v111
	v_add_f32_e32 v57, v117, v118
	;; [unrolled: 1-line block ×3, first 2 shown]
	v_fmamk_f32 v89, v62, 0x3f737871, v47
	v_fmac_f32_e32 v47, 0xbf737871, v62
	v_add_f32_e32 v41, v88, v95
	v_fmamk_f32 v88, v120, 0xbf737871, v54
	v_fmac_f32_e32 v54, 0x3f737871, v120
	v_fmamk_f32 v91, v119, 0x3f737871, v63
	v_fmac_f32_e32 v63, 0xbf737871, v119
	v_fmac_f32_e32 v56, 0xbf167918, v121
	;; [unrolled: 1-line block ×11, first 2 shown]
	v_add_f32_e32 v35, v35, v42
	v_fmac_f32_e32 v89, 0x3f167918, v120
	v_fmac_f32_e32 v47, 0xbf167918, v120
	;; [unrolled: 1-line block ×4, first 2 shown]
	v_add_f32_e32 v40, v40, v97
	v_fmac_f32_e32 v91, 0xbf167918, v37
	v_fmac_f32_e32 v63, 0x3f167918, v37
	v_add_f32_e32 v36, v36, v43
	v_add_f32_e32 v37, v41, v108
	v_fmac_f32_e32 v56, 0x3e9e377a, v55
	v_fmac_f32_e32 v92, 0x3e9e377a, v58
	;; [unrolled: 1-line block ×8, first 2 shown]
	v_mul_f32_e32 v52, 0x3f167918, v93
	v_mul_f32_e32 v55, 0xbf167918, v44
	v_fmac_f32_e32 v89, 0x3e9e377a, v33
	v_fmac_f32_e32 v47, 0x3e9e377a, v33
	;; [unrolled: 1-line block ×6, first 2 shown]
	v_add_f32_e32 v33, v35, v36
	v_add_f32_e32 v34, v40, v37
	v_sub_f32_e32 v35, v35, v36
	v_sub_f32_e32 v36, v40, v37
	v_mul_f32_e32 v53, 0x3f737871, v94
	v_mul_f32_e32 v37, 0x3e9e377a, v39
	v_mul_f32_e32 v38, 0x3f4f1bbd, v56
	v_mul_f32_e32 v57, 0xbf737871, v92
	v_mul_f32_e32 v40, 0x3e9e377a, v60
	v_mul_f32_e32 v41, 0x3f4f1bbd, v61
	v_fmac_f32_e32 v52, 0x3f4f1bbd, v44
	v_fmac_f32_e32 v55, 0x3f4f1bbd, v93
	;; [unrolled: 1-line block ×3, first 2 shown]
	v_fma_f32 v58, 0x3f737871, v60, -v37
	v_fma_f32 v59, 0x3f167918, v61, -v38
	v_fmac_f32_e32 v57, 0x3e9e377a, v94
	v_fma_f32 v61, 0xbf737871, v39, -v40
	v_fma_f32 v62, 0xbf167918, v56, -v41
	v_add_f32_e32 v37, v89, v52
	v_add_f32_e32 v38, v90, v55
	v_add_f32_e32 v39, v88, v53
	v_add_f32_e32 v41, v54, v58
	v_add_f32_e32 v40, v91, v57
	v_add_f32_e32 v42, v63, v61
	v_add_f32_e32 v43, v47, v59
	v_add_f32_e32 v44, v123, v62
	v_sub_f32_e32 v52, v89, v52
	v_sub_f32_e32 v56, v88, v53
	;; [unrolled: 1-line block ×8, first 2 shown]
	ds_write2_b64 v107, v[33:34], v[37:38] offset1:40
	ds_write2_b64 v107, v[39:40], v[41:42] offset0:80 offset1:120
	ds_write2_b64 v107, v[43:44], v[35:36] offset0:160 offset1:200
	;; [unrolled: 1-line block ×4, first 2 shown]
	s_waitcnt lgkmcnt(0)
	s_barrier
	buffer_gl0_inv
	ds_read_b64 v[54:55], v99
	ds_read_b64 v[97:98], v99 offset:3200
	ds_read_b64 v[95:96], v99 offset:6400
	;; [unrolled: 1-line block ×5, first 2 shown]
	s_and_saveexec_b32 s1, s0
	s_cbranch_execz .LBB0_9
; %bb.8:
	ds_read_b64 v[52:53], v99 offset:1920
	ds_read_b64 v[56:57], v99 offset:5120
	;; [unrolled: 1-line block ×6, first 2 shown]
.LBB0_9:
	s_or_b32 exec_lo, exec_lo, s1
	v_mad_u64_u32 v[33:34], null, v102, 40, s[2:3]
	v_add_co_u32 v35, s1, 0x800, v33
	v_add_co_ci_u32_e64 v36, s1, 0, v34, s1
	v_add_co_u32 v33, s1, 0xc60, v33
	v_add_co_ci_u32_e64 v34, s1, 0, v34, s1
	s_clause 0x1
	global_load_dwordx4 v[44:47], v[35:36], off offset:1120
	global_load_dwordx4 v[40:43], v[33:34], off offset:16
	v_add_nc_u32_e32 v35, 0xffffff60, v102
	global_load_dwordx2 v[89:90], v[33:34], off offset:32
	v_cndmask_b32_e64 v32, v35, v32, s0
	v_mul_i32_i24_e32 v33, 40, v32
	v_mul_hi_i32_i24_e32 v32, 40, v32
	v_add_co_u32 v34, s1, s2, v33
	v_add_co_ci_u32_e64 v35, s1, s3, v32, s1
	v_add_co_u32 v32, s1, 0x800, v34
	v_add_co_ci_u32_e64 v33, s1, 0, v35, s1
	;; [unrolled: 2-line block ×3, first 2 shown]
	s_clause 0x2
	global_load_dwordx4 v[36:39], v[32:33], off offset:1120
	global_load_dwordx4 v[32:35], v[87:88], off offset:16
	global_load_dwordx2 v[87:88], v[87:88], off offset:32
	s_waitcnt vmcnt(5) lgkmcnt(4)
	v_mul_f32_e32 v109, v97, v45
	s_waitcnt lgkmcnt(3)
	v_mul_f32_e32 v110, v96, v47
	v_mul_f32_e32 v111, v95, v47
	s_waitcnt vmcnt(4) lgkmcnt(2)
	v_mul_f32_e32 v112, v94, v41
	v_mul_f32_e32 v113, v93, v41
	s_waitcnt lgkmcnt(1)
	v_mul_f32_e32 v114, v92, v43
	v_mul_f32_e32 v115, v91, v43
	s_waitcnt vmcnt(3) lgkmcnt(0)
	v_mul_f32_e32 v116, v63, v90
	v_mul_f32_e32 v108, v98, v45
	;; [unrolled: 1-line block ×3, first 2 shown]
	v_fmac_f32_e32 v109, v98, v44
	v_fma_f32 v95, v95, v46, -v110
	v_fmac_f32_e32 v111, v96, v46
	v_fma_f32 v93, v93, v40, -v112
	;; [unrolled: 2-line block ×4, first 2 shown]
	v_fma_f32 v97, v97, v44, -v108
	v_fmac_f32_e32 v117, v63, v89
	v_add_f32_e32 v63, v54, v95
	v_add_f32_e32 v92, v95, v91
	;; [unrolled: 1-line block ×6, first 2 shown]
	v_sub_f32_e32 v94, v111, v115
	v_sub_f32_e32 v95, v95, v91
	v_add_f32_e32 v108, v97, v93
	v_sub_f32_e32 v111, v113, v117
	s_waitcnt vmcnt(2)
	v_mul_f32_e32 v116, v56, v37
	v_mul_f32_e32 v119, v58, v39
	s_waitcnt vmcnt(1)
	v_mul_f32_e32 v120, v61, v33
	v_mul_f32_e32 v121, v60, v33
	;; [unrolled: 1-line block ×3, first 2 shown]
	s_waitcnt vmcnt(0)
	v_mul_f32_e32 v124, v51, v88
	v_mul_f32_e32 v125, v50, v88
	v_add_f32_e32 v113, v113, v117
	v_mul_f32_e32 v114, v57, v37
	v_mul_f32_e32 v118, v59, v39
	;; [unrolled: 1-line block ×3, first 2 shown]
	v_add_f32_e32 v63, v63, v91
	v_fma_f32 v126, -0.5, v92, v54
	v_add_f32_e32 v54, v96, v115
	v_fmac_f32_e32 v55, -0.5, v98
	v_fmac_f32_e32 v97, -0.5, v110
	v_add_f32_e32 v91, v112, v117
	v_fmac_f32_e32 v116, v57, v36
	v_fmac_f32_e32 v119, v59, v38
	v_fma_f32 v57, v60, v32, -v120
	v_fmac_f32_e32 v121, v61, v32
	v_fmac_f32_e32 v123, v49, v34
	v_fma_f32 v50, v50, v87, -v124
	v_fmac_f32_e32 v125, v51, v87
	v_sub_f32_e32 v93, v93, v62
	v_add_f32_e32 v62, v108, v62
	v_fmac_f32_e32 v109, -0.5, v113
	v_fma_f32 v96, v56, v36, -v114
	v_fma_f32 v56, v58, v38, -v118
	;; [unrolled: 1-line block ×3, first 2 shown]
	v_fmamk_f32 v98, v94, 0x3f5db3d7, v126
	v_fmac_f32_e32 v126, 0xbf5db3d7, v94
	v_fmamk_f32 v94, v95, 0xbf5db3d7, v55
	v_fmac_f32_e32 v55, 0x3f5db3d7, v95
	;; [unrolled: 2-line block ×3, first 2 shown]
	v_add_f32_e32 v49, v54, v91
	v_sub_f32_e32 v60, v54, v91
	v_add_f32_e32 v91, v119, v123
	v_add_f32_e32 v95, v57, v50
	;; [unrolled: 1-line block ×3, first 2 shown]
	v_fmamk_f32 v92, v93, 0xbf5db3d7, v109
	v_fmac_f32_e32 v109, 0x3f5db3d7, v93
	v_add_f32_e32 v48, v63, v62
	v_sub_f32_e32 v59, v63, v62
	v_add_f32_e32 v51, v52, v56
	v_add_f32_e32 v54, v56, v58
	;; [unrolled: 1-line block ×3, first 2 shown]
	v_sub_f32_e32 v93, v56, v58
	v_add_f32_e32 v56, v96, v57
	v_sub_f32_e32 v108, v121, v125
	v_add_f32_e32 v110, v116, v121
	v_sub_f32_e32 v57, v57, v50
	v_fmac_f32_e32 v53, -0.5, v91
	v_fmac_f32_e32 v96, -0.5, v95
	;; [unrolled: 1-line block ×3, first 2 shown]
	ds_write_b64 v99, v[48:49]
	v_add_f32_e32 v49, v63, v123
	v_add_f32_e32 v50, v56, v50
	v_fmamk_f32 v56, v93, 0xbf5db3d7, v53
	v_fmac_f32_e32 v53, 0x3f5db3d7, v93
	v_fmamk_f32 v63, v108, 0x3f5db3d7, v96
	v_fmac_f32_e32 v96, 0xbf5db3d7, v108
	v_fmamk_f32 v93, v57, 0xbf5db3d7, v116
	v_fmac_f32_e32 v116, 0x3f5db3d7, v57
	v_sub_f32_e32 v62, v119, v123
	v_mul_f32_e32 v112, 0x3f5db3d7, v92
	v_mul_f32_e32 v114, 0xbf5db3d7, v61
	v_add_f32_e32 v48, v51, v58
	v_fmac_f32_e32 v52, -0.5, v54
	v_mul_f32_e32 v95, -0.5, v96
	v_mul_f32_e32 v117, -0.5, v116
	v_mul_f32_e32 v57, 0x3f5db3d7, v93
	v_mul_f32_e32 v58, 0xbf5db3d7, v63
	v_mul_f32_e32 v113, -0.5, v97
	v_mul_f32_e32 v115, -0.5, v109
	v_add_f32_e32 v51, v110, v125
	v_fmac_f32_e32 v112, 0.5, v61
	v_fmac_f32_e32 v114, 0.5, v92
	v_fmamk_f32 v54, v62, 0x3f5db3d7, v52
	v_fmac_f32_e32 v52, 0xbf5db3d7, v62
	v_fmac_f32_e32 v95, 0x3f5db3d7, v116
	;; [unrolled: 1-line block ×3, first 2 shown]
	v_fmac_f32_e32 v57, 0.5, v63
	v_fmac_f32_e32 v58, 0.5, v93
	v_fmac_f32_e32 v113, 0x3f5db3d7, v109
	v_fmac_f32_e32 v115, 0xbf5db3d7, v97
	v_sub_f32_e32 v91, v48, v50
	v_sub_f32_e32 v92, v49, v51
	v_add_f32_e32 v61, v98, v112
	v_add_f32_e32 v62, v94, v114
	v_sub_f32_e32 v110, v98, v112
	v_sub_f32_e32 v111, v94, v114
	v_add_f32_e32 v93, v52, v95
	v_add_f32_e32 v94, v53, v117
	v_sub_f32_e32 v97, v54, v57
	v_sub_f32_e32 v95, v52, v95
	;; [unrolled: 1-line block ×4, first 2 shown]
	v_add_f32_e32 v108, v126, v113
	v_add_f32_e32 v109, v55, v115
	v_sub_f32_e32 v112, v126, v113
	v_sub_f32_e32 v113, v55, v115
	ds_write_b64 v99, v[61:62] offset:3200
	ds_write_b64 v99, v[108:109] offset:6400
	;; [unrolled: 1-line block ×5, first 2 shown]
	s_and_saveexec_b32 s1, s0
	s_cbranch_execz .LBB0_11
; %bb.10:
	v_add_f32_e32 v49, v49, v51
	v_add_f32_e32 v48, v48, v50
	;; [unrolled: 1-line block ×4, first 2 shown]
	ds_write_b64 v99, v[48:49] offset:1920
	ds_write_b64 v99, v[51:52] offset:5120
	;; [unrolled: 1-line block ×6, first 2 shown]
.LBB0_11:
	s_or_b32 exec_lo, exec_lo, s1
	v_add_co_u32 v48, s1, 0x4800, v100
	v_add_co_ci_u32_e64 v49, s1, 0, v101, s1
	s_waitcnt lgkmcnt(0)
	s_barrier
	buffer_gl0_inv
	global_load_dwordx2 v[55:56], v[48:49], off offset:768
	v_add_co_u32 v50, s2, 0x5800, v100
	v_add_co_ci_u32_e64 v51, s2, 0, v101, s2
	v_add_co_u32 v52, s3, 0x7000, v100
	v_add_co_u32 v57, s4, 0x8000, v100
	global_load_dwordx2 v[118:119], v[50:51], off offset:1472
	v_add_co_u32 v48, s1, 0x4b00, v100
	v_add_co_ci_u32_e64 v49, s1, 0, v101, s1
	v_add_co_u32 v59, s5, 0x6000, v100
	v_add_co_u32 v61, s6, 0x7800, v100
	global_load_dwordx2 v[116:117], v[48:49], off offset:1920
	v_add_co_ci_u32_e64 v53, s2, 0, v101, s3
	v_add_co_u32 v108, s1, 0x8800, v100
	v_add_co_ci_u32_e64 v58, s2, 0, v101, s4
	v_add_co_ci_u32_e64 v60, s2, 0, v101, s5
	;; [unrolled: 1-line block ×4, first 2 shown]
	s_clause 0x4
	global_load_dwordx2 v[120:121], v[52:53], off offset:128
	global_load_dwordx2 v[122:123], v[57:58], off offset:832
	;; [unrolled: 1-line block ×3, first 2 shown]
	global_load_dwordx2 v[62:63], v[61:62], off
	global_load_dwordx2 v[126:127], v[108:109], off offset:704
	ds_read2_b64 v[51:54], v99 offset1:240
	v_add_nc_u32_e32 v57, 0x2580, v99
	s_waitcnt vmcnt(7) lgkmcnt(0)
	v_mul_f32_e32 v50, v52, v56
	v_mul_f32_e32 v59, v51, v56
	v_add_nc_u32_e32 v56, 0x3800, v99
	v_fma_f32 v58, v51, v55, -v50
	v_fmac_f32_e32 v59, v52, v55
	v_add_nc_u32_e32 v52, 0x1280, v99
	ds_write_b64 v99, v[58:59]
	ds_read2_b64 v[58:61], v52 offset0:8 offset1:248
	ds_read2_b64 v[108:111], v57 offset1:240
	ds_read2_b64 v[112:115], v56 offset0:8 offset1:248
	s_waitcnt vmcnt(5)
	v_mul_f32_e32 v50, v54, v117
	v_mul_f32_e32 v51, v53, v117
	v_fma_f32 v50, v53, v116, -v50
	v_fmac_f32_e32 v51, v54, v116
	s_waitcnt lgkmcnt(2)
	v_mul_f32_e32 v53, v59, v119
	v_mul_f32_e32 v54, v58, v119
	s_waitcnt vmcnt(4) lgkmcnt(1)
	v_mul_f32_e32 v55, v109, v121
	v_mul_f32_e32 v117, v108, v121
	s_waitcnt vmcnt(2)
	v_mul_f32_e32 v129, v61, v125
	v_mul_f32_e32 v121, v60, v125
	s_waitcnt lgkmcnt(0)
	v_mul_f32_e32 v128, v113, v123
	v_mul_f32_e32 v119, v112, v123
	s_waitcnt vmcnt(1)
	v_mul_f32_e32 v125, v111, v63
	v_mul_f32_e32 v123, v110, v63
	s_waitcnt vmcnt(0)
	v_mul_f32_e32 v130, v115, v127
	v_mul_f32_e32 v63, v114, v127
	v_fma_f32 v53, v58, v118, -v53
	v_fmac_f32_e32 v54, v59, v118
	v_fma_f32 v116, v108, v120, -v55
	v_fmac_f32_e32 v117, v109, v120
	;; [unrolled: 2-line block ×6, first 2 shown]
	ds_write_b64 v99, v[50:51] offset:1920
	ds_write2_b64 v52, v[53:54], v[120:121] offset0:8 offset1:248
	ds_write2_b64 v57, v[116:117], v[122:123] offset1:240
	ds_write2_b64 v56, v[118:119], v[62:63] offset0:8 offset1:248
	s_and_saveexec_b32 s2, vcc_lo
	s_cbranch_execz .LBB0_13
; %bb.12:
	v_add_co_u32 v50, s1, 0x800, v48
	v_add_co_ci_u32_e64 v51, s1, 0, v49, s1
	v_add_co_u32 v53, s1, 0x2000, v48
	v_add_co_ci_u32_e64 v54, s1, 0, v49, s1
	;; [unrolled: 2-line block ×3, first 2 shown]
	v_add_co_u32 v48, s1, 0x4000, v48
	global_load_dwordx2 v[50:51], v[50:51], off offset:1792
	v_add_co_ci_u32_e64 v49, s1, 0, v49, s1
	s_clause 0x2
	global_load_dwordx2 v[53:54], v[53:54], off offset:448
	global_load_dwordx2 v[58:59], v[58:59], off offset:1152
	global_load_dwordx2 v[48:49], v[48:49], off offset:1856
	ds_read_b64 v[60:61], v99 offset:3840
	ds_read_b64 v[62:63], v99 offset:8640
	ds_read_b64 v[108:109], v99 offset:13440
	ds_read_b64 v[110:111], v99 offset:18240
	s_waitcnt vmcnt(3) lgkmcnt(3)
	v_mul_f32_e32 v112, v61, v51
	v_mul_f32_e32 v55, v60, v51
	s_waitcnt vmcnt(2) lgkmcnt(2)
	v_mul_f32_e32 v114, v63, v54
	v_mul_f32_e32 v51, v62, v54
	;; [unrolled: 3-line block ×4, first 2 shown]
	v_fma_f32 v54, v60, v50, -v112
	v_fmac_f32_e32 v55, v61, v50
	v_fma_f32 v50, v62, v53, -v114
	v_fmac_f32_e32 v51, v63, v53
	;; [unrolled: 2-line block ×4, first 2 shown]
	ds_write_b64 v99, v[54:55] offset:3840
	ds_write_b64 v99, v[50:51] offset:8640
	ds_write_b64 v99, v[112:113] offset:13440
	ds_write_b64 v99, v[58:59] offset:18240
.LBB0_13:
	s_or_b32 exec_lo, exec_lo, s2
	s_waitcnt lgkmcnt(0)
	s_barrier
	buffer_gl0_inv
	ds_read2_b64 v[48:51], v99 offset1:240
	ds_read2_b64 v[52:55], v52 offset0:8 offset1:248
	ds_read2_b64 v[60:63], v57 offset1:240
	ds_read2_b64 v[56:59], v56 offset0:8 offset1:248
	s_and_saveexec_b32 s1, vcc_lo
	s_cbranch_execz .LBB0_15
; %bb.14:
	ds_read_b64 v[93:94], v99 offset:3840
	ds_read_b64 v[91:92], v99 offset:8640
	;; [unrolled: 1-line block ×4, first 2 shown]
.LBB0_15:
	s_or_b32 exec_lo, exec_lo, s1
	s_waitcnt lgkmcnt(1)
	v_sub_f32_e32 v109, v48, v60
	s_waitcnt lgkmcnt(0)
	v_sub_f32_e32 v108, v52, v56
	v_sub_f32_e32 v110, v49, v61
	;; [unrolled: 1-line block ×4, first 2 shown]
	v_fma_f32 v48, v48, 2.0, -v109
	v_fma_f32 v52, v52, 2.0, -v108
	v_sub_f32_e32 v111, v54, v58
	v_sub_f32_e32 v115, v51, v63
	v_fma_f32 v49, v49, 2.0, -v110
	v_fma_f32 v53, v53, 2.0, -v61
	v_sub_f32_e32 v56, v48, v52
	v_sub_f32_e32 v52, v55, v59
	v_fma_f32 v50, v50, 2.0, -v114
	v_add_f32_e32 v58, v109, v61
	v_sub_f32_e32 v57, v49, v53
	v_fma_f32 v60, v48, 2.0, -v56
	v_fma_f32 v48, v54, 2.0, -v111
	v_sub_f32_e32 v59, v110, v108
	v_fma_f32 v51, v51, 2.0, -v115
	v_fma_f32 v53, v55, 2.0, -v52
	;; [unrolled: 1-line block ×3, first 2 shown]
	v_sub_f32_e32 v108, v50, v48
	v_fma_f32 v63, v110, 2.0, -v59
	v_add_f32_e32 v110, v114, v52
	v_sub_f32_e32 v109, v51, v53
	v_sub_f32_e32 v52, v93, v97
	v_fma_f32 v112, v50, 2.0, -v108
	v_sub_f32_e32 v53, v94, v98
	v_sub_f32_e32 v95, v91, v95
	v_sub_f32_e32 v50, v92, v96
	v_fma_f32 v61, v49, 2.0, -v57
	v_fma_f32 v54, v93, 2.0, -v52
	;; [unrolled: 1-line block ×5, first 2 shown]
	v_sub_f32_e32 v111, v115, v111
	v_fma_f32 v113, v51, 2.0, -v109
	v_add_f32_e32 v50, v50, v52
	v_sub_f32_e32 v48, v54, v48
	v_sub_f32_e32 v49, v55, v49
	;; [unrolled: 1-line block ×3, first 2 shown]
	v_fma_f32 v114, v114, 2.0, -v110
	v_fma_f32 v115, v115, 2.0, -v111
	s_barrier
	buffer_gl0_inv
	ds_write_b128 v105, v[60:63]
	ds_write_b128 v105, v[56:59] offset:16
	ds_write_b128 v106, v[112:115]
	ds_write_b128 v106, v[108:111] offset:16
	s_and_saveexec_b32 s1, vcc_lo
	s_cbranch_execz .LBB0_17
; %bb.16:
	v_fma_f32 v57, v53, 2.0, -v51
	v_fma_f32 v56, v52, 2.0, -v50
	;; [unrolled: 1-line block ×4, first 2 shown]
	ds_write_b128 v104, v[54:57]
	ds_write_b128 v104, v[48:51] offset:16
.LBB0_17:
	s_or_b32 exec_lo, exec_lo, s1
	s_waitcnt lgkmcnt(0)
	s_barrier
	buffer_gl0_inv
	ds_read2_b64 v[52:55], v99 offset1:240
	v_add_nc_u32_e32 v104, 0xf00, v99
	v_add_nc_u32_e32 v105, 0x1e00, v99
	;; [unrolled: 1-line block ×4, first 2 shown]
	ds_read2_b64 v[56:59], v104 offset1:240
	ds_read2_b64 v[60:63], v105 offset1:240
	;; [unrolled: 1-line block ×4, first 2 shown]
	s_waitcnt lgkmcnt(0)
	s_barrier
	buffer_gl0_inv
	v_mul_f32_e32 v109, v13, v55
	v_mul_f32_e32 v13, v13, v54
	v_fmac_f32_e32 v109, v12, v54
	v_fma_f32 v12, v12, v55, -v13
	v_mul_f32_e32 v13, v15, v57
	v_mul_f32_e32 v55, v11, v61
	;; [unrolled: 1-line block ×9, first 2 shown]
	v_fmac_f32_e32 v13, v14, v56
	v_fmac_f32_e32 v55, v10, v60
	;; [unrolled: 1-line block ×3, first 2 shown]
	v_mul_f32_e32 v7, v7, v91
	v_fma_f32 v4, v4, v63, -v5
	v_fmac_f32_e32 v111, v6, v91
	v_mul_f32_e32 v5, v3, v95
	v_mul_f32_e32 v3, v3, v96
	v_fma_f32 v14, v14, v57, -v15
	v_fmac_f32_e32 v54, v8, v58
	v_fma_f32 v8, v8, v59, -v9
	v_fma_f32 v9, v10, v61, -v11
	v_mul_f32_e32 v10, v1, v94
	v_fma_f32 v6, v6, v92, -v7
	v_mul_f32_e32 v1, v1, v93
	v_add_f32_e32 v7, v55, v111
	v_fma_f32 v5, v2, v96, -v5
	v_add_f32_e32 v15, v52, v13
	v_fmac_f32_e32 v3, v2, v95
	v_fmac_f32_e32 v10, v0, v93
	v_fma_f32 v56, -0.5, v7, v52
	v_sub_f32_e32 v7, v14, v5
	v_fma_f32 v0, v0, v94, -v1
	v_add_f32_e32 v1, v15, v55
	v_add_f32_e32 v59, v13, v3
	v_sub_f32_e32 v2, v9, v6
	v_fmamk_f32 v15, v7, 0xbf737871, v56
	v_sub_f32_e32 v57, v13, v55
	v_sub_f32_e32 v58, v3, v111
	v_mul_f32_e32 v60, v84, v97
	v_add_f32_e32 v1, v1, v111
	v_fma_f32 v52, -0.5, v59, v52
	v_fmac_f32_e32 v56, 0x3f737871, v7
	v_add_f32_e32 v62, v53, v14
	v_fmac_f32_e32 v15, 0xbf167918, v2
	v_add_f32_e32 v57, v57, v58
	v_fma_f32 v58, v83, v98, -v60
	v_add_f32_e32 v59, v1, v3
	v_fmamk_f32 v60, v2, 0x3f737871, v52
	v_sub_f32_e32 v1, v55, v13
	v_sub_f32_e32 v61, v111, v3
	v_fmac_f32_e32 v56, 0x3f167918, v2
	v_add_f32_e32 v63, v9, v6
	v_fmac_f32_e32 v52, 0xbf737871, v2
	v_add_f32_e32 v2, v62, v9
	;; [unrolled: 2-line block ×3, first 2 shown]
	v_fma_f32 v61, -0.5, v63, v53
	v_sub_f32_e32 v3, v13, v3
	v_fmac_f32_e32 v52, 0x3f167918, v7
	v_add_f32_e32 v2, v2, v6
	v_add_f32_e32 v7, v14, v5
	v_mul_f32_e32 v11, v84, v98
	v_fmac_f32_e32 v15, 0x3e9e377a, v57
	v_fmac_f32_e32 v56, 0x3e9e377a, v57
	v_fmamk_f32 v13, v3, 0x3f737871, v61
	v_sub_f32_e32 v55, v55, v111
	v_sub_f32_e32 v57, v14, v9
	;; [unrolled: 1-line block ×3, first 2 shown]
	v_fma_f32 v53, -0.5, v7, v53
	v_add_f32_e32 v63, v2, v5
	v_fmac_f32_e32 v61, 0xbf737871, v3
	v_sub_f32_e32 v2, v9, v14
	v_sub_f32_e32 v5, v6, v5
	v_add_f32_e32 v6, v109, v54
	v_fmac_f32_e32 v11, v83, v97
	v_fmac_f32_e32 v60, 0x3e9e377a, v1
	;; [unrolled: 1-line block ×4, first 2 shown]
	v_add_f32_e32 v1, v57, v62
	v_fmamk_f32 v57, v55, 0xbf737871, v53
	v_fmac_f32_e32 v61, 0xbf167918, v55
	v_add_f32_e32 v2, v2, v5
	v_fmac_f32_e32 v53, 0x3f737871, v55
	v_add_f32_e32 v5, v6, v110
	v_add_f32_e32 v6, v110, v10
	v_fmac_f32_e32 v13, 0x3e9e377a, v1
	v_fmac_f32_e32 v57, 0x3f167918, v3
	;; [unrolled: 1-line block ×4, first 2 shown]
	v_add_f32_e32 v1, v5, v10
	v_fma_f32 v3, -0.5, v6, v109
	v_add_f32_e32 v5, v54, v11
	v_sub_f32_e32 v6, v8, v58
	v_fmac_f32_e32 v57, 0x3e9e377a, v2
	v_fmac_f32_e32 v53, 0x3e9e377a, v2
	v_add_f32_e32 v14, v1, v11
	v_sub_f32_e32 v1, v4, v0
	v_fmac_f32_e32 v109, -0.5, v5
	v_fmamk_f32 v5, v6, 0xbf737871, v3
	v_sub_f32_e32 v2, v54, v110
	v_sub_f32_e32 v7, v11, v10
	v_fmac_f32_e32 v3, 0x3f737871, v6
	v_fmamk_f32 v9, v1, 0x3f737871, v109
	v_fmac_f32_e32 v5, 0xbf167918, v1
	v_sub_f32_e32 v55, v110, v54
	v_add_f32_e32 v2, v2, v7
	v_fmac_f32_e32 v3, 0x3f167918, v1
	v_sub_f32_e32 v62, v10, v11
	v_fmac_f32_e32 v109, 0xbf737871, v1
	v_add_f32_e32 v1, v4, v0
	v_fmac_f32_e32 v5, 0x3e9e377a, v2
	v_fmac_f32_e32 v3, 0x3e9e377a, v2
	v_add_f32_e32 v2, v8, v58
	v_fmac_f32_e32 v9, 0xbf167918, v6
	v_add_f32_e32 v7, v55, v62
	v_fmac_f32_e32 v109, 0x3f167918, v6
	v_fma_f32 v1, -0.5, v1, v12
	v_sub_f32_e32 v6, v54, v11
	v_add_f32_e32 v11, v12, v8
	v_sub_f32_e32 v10, v110, v10
	v_fmac_f32_e32 v12, -0.5, v2
	v_fmac_f32_e32 v9, 0x3e9e377a, v7
	v_fmac_f32_e32 v109, 0x3e9e377a, v7
	v_fmamk_f32 v7, v6, 0x3f737871, v1
	v_sub_f32_e32 v2, v8, v4
	v_sub_f32_e32 v54, v58, v0
	v_fmamk_f32 v55, v10, 0xbf737871, v12
	v_sub_f32_e32 v8, v4, v8
	v_sub_f32_e32 v62, v0, v58
	v_fmac_f32_e32 v12, 0x3f737871, v10
	v_fmac_f32_e32 v1, 0xbf737871, v6
	;; [unrolled: 1-line block ×3, first 2 shown]
	v_add_f32_e32 v2, v2, v54
	v_fmac_f32_e32 v55, 0x3f167918, v6
	v_add_f32_e32 v8, v8, v62
	v_fmac_f32_e32 v12, 0xbf167918, v6
	v_fmac_f32_e32 v1, 0xbf167918, v10
	v_add_f32_e32 v4, v11, v4
	v_fmac_f32_e32 v7, 0x3e9e377a, v2
	v_fmac_f32_e32 v55, 0x3e9e377a, v8
	;; [unrolled: 1-line block ×4, first 2 shown]
	v_add_f32_e32 v0, v4, v0
	v_mul_f32_e32 v11, 0xbf167918, v7
	v_mul_f32_e32 v84, 0x3f4f1bbd, v7
	;; [unrolled: 1-line block ×8, first 2 shown]
	v_add_f32_e32 v58, v0, v58
	v_fmac_f32_e32 v11, 0x3f4f1bbd, v5
	v_fmac_f32_e32 v84, 0x3f167918, v5
	;; [unrolled: 1-line block ×8, first 2 shown]
	v_add_f32_e32 v0, v59, v14
	v_add_f32_e32 v2, v15, v11
	;; [unrolled: 1-line block ×10, first 2 shown]
	v_sub_f32_e32 v10, v59, v14
	v_sub_f32_e32 v12, v15, v11
	;; [unrolled: 1-line block ×10, first 2 shown]
	ds_write2_b64 v103, v[0:1], v[2:3] offset1:4
	ds_write2_b64 v103, v[4:5], v[6:7] offset0:8 offset1:12
	ds_write2_b64 v103, v[8:9], v[10:11] offset0:16 offset1:20
	;; [unrolled: 1-line block ×4, first 2 shown]
	s_waitcnt lgkmcnt(0)
	s_barrier
	buffer_gl0_inv
	ds_read2_b64 v[0:3], v99 offset1:240
	ds_read2_b64 v[4:7], v104 offset1:240
	;; [unrolled: 1-line block ×5, first 2 shown]
	s_waitcnt lgkmcnt(0)
	s_barrier
	buffer_gl0_inv
	v_mul_f32_e32 v56, v29, v3
	v_mul_f32_e32 v57, v31, v5
	;; [unrolled: 1-line block ×3, first 2 shown]
	v_fmac_f32_e32 v56, v28, v2
	v_mul_f32_e32 v2, v31, v4
	v_fmac_f32_e32 v57, v30, v4
	v_mul_f32_e32 v4, v25, v7
	v_mul_f32_e32 v25, v25, v6
	v_fma_f32 v3, v28, v3, -v29
	v_fma_f32 v2, v30, v5, -v2
	v_mul_f32_e32 v5, v27, v9
	v_mul_f32_e32 v27, v27, v8
	v_fmac_f32_e32 v4, v24, v6
	v_fma_f32 v6, v24, v7, -v25
	v_mul_f32_e32 v7, v21, v11
	v_fmac_f32_e32 v5, v26, v8
	v_fma_f32 v8, v26, v9, -v27
	v_mul_f32_e32 v9, v21, v10
	v_mul_f32_e32 v21, v23, v13
	v_fmac_f32_e32 v7, v20, v10
	v_mul_f32_e32 v10, v23, v12
	v_mul_f32_e32 v23, v17, v15
	v_fma_f32 v9, v20, v11, -v9
	v_fmac_f32_e32 v21, v22, v12
	v_mul_f32_e32 v11, v19, v52
	v_mul_f32_e32 v12, v17, v14
	v_fmac_f32_e32 v23, v16, v14
	v_mul_f32_e32 v14, v19, v53
	v_fma_f32 v10, v22, v13, -v10
	v_add_f32_e32 v13, v5, v21
	v_fma_f32 v11, v18, v53, -v11
	v_add_f32_e32 v19, v0, v57
	v_fmac_f32_e32 v14, v18, v52
	v_fma_f32 v12, v16, v15, -v12
	v_fma_f32 v20, -0.5, v13, v0
	v_sub_f32_e32 v13, v2, v11
	v_add_f32_e32 v15, v19, v5
	v_sub_f32_e32 v18, v57, v5
	v_sub_f32_e32 v22, v14, v21
	v_add_f32_e32 v24, v57, v14
	v_fmamk_f32 v19, v13, 0xbf737871, v20
	v_sub_f32_e32 v16, v8, v10
	v_mul_f32_e32 v25, v86, v54
	v_add_f32_e32 v15, v15, v21
	v_add_f32_e32 v18, v18, v22
	v_fma_f32 v22, -0.5, v24, v0
	v_fmac_f32_e32 v20, 0x3f737871, v13
	v_add_f32_e32 v27, v1, v2
	v_fmac_f32_e32 v19, 0xbf167918, v16
	v_fma_f32 v0, v85, v55, -v25
	v_add_f32_e32 v24, v15, v14
	v_fmamk_f32 v25, v16, 0x3f737871, v22
	v_sub_f32_e32 v15, v5, v57
	v_sub_f32_e32 v26, v21, v14
	v_fmac_f32_e32 v20, 0x3f167918, v16
	v_add_f32_e32 v28, v8, v10
	v_fmac_f32_e32 v22, 0xbf737871, v16
	v_add_f32_e32 v16, v27, v8
	;; [unrolled: 2-line block ×3, first 2 shown]
	v_fma_f32 v26, -0.5, v28, v1
	v_sub_f32_e32 v14, v57, v14
	v_fmac_f32_e32 v22, 0x3f167918, v13
	v_add_f32_e32 v13, v16, v10
	v_add_f32_e32 v16, v2, v11
	v_mul_f32_e32 v17, v86, v55
	v_fmac_f32_e32 v19, 0x3e9e377a, v18
	v_fmac_f32_e32 v20, 0x3e9e377a, v18
	v_fmamk_f32 v27, v14, 0x3f737871, v26
	v_sub_f32_e32 v5, v5, v21
	v_sub_f32_e32 v18, v2, v8
	;; [unrolled: 1-line block ×3, first 2 shown]
	v_fma_f32 v28, -0.5, v16, v1
	v_fmac_f32_e32 v26, 0xbf737871, v14
	v_sub_f32_e32 v2, v8, v2
	v_sub_f32_e32 v8, v10, v11
	v_add_f32_e32 v10, v56, v4
	v_fmac_f32_e32 v17, v85, v54
	v_add_f32_e32 v1, v13, v11
	v_fmac_f32_e32 v27, 0x3f167918, v5
	v_add_f32_e32 v13, v18, v21
	v_fmamk_f32 v21, v5, 0xbf737871, v28
	v_fmac_f32_e32 v26, 0xbf167918, v5
	v_add_f32_e32 v2, v2, v8
	v_fmac_f32_e32 v28, 0x3f737871, v5
	v_add_f32_e32 v5, v10, v7
	v_add_f32_e32 v8, v7, v23
	v_fmac_f32_e32 v21, 0x3f167918, v14
	v_sub_f32_e32 v10, v6, v0
	v_fmac_f32_e32 v28, 0xbf167918, v14
	v_add_f32_e32 v5, v5, v23
	v_fma_f32 v11, -0.5, v8, v56
	v_add_f32_e32 v8, v4, v17
	v_fmac_f32_e32 v27, 0x3e9e377a, v13
	v_fmac_f32_e32 v26, 0x3e9e377a, v13
	;; [unrolled: 1-line block ×4, first 2 shown]
	v_add_f32_e32 v2, v5, v17
	v_sub_f32_e32 v5, v9, v12
	v_fmac_f32_e32 v56, -0.5, v8
	v_fmamk_f32 v13, v10, 0xbf737871, v11
	v_sub_f32_e32 v8, v4, v7
	v_sub_f32_e32 v14, v17, v23
	v_fmac_f32_e32 v11, 0x3f737871, v10
	v_fmac_f32_e32 v25, 0x3e9e377a, v15
	;; [unrolled: 1-line block ×4, first 2 shown]
	v_add_f32_e32 v8, v8, v14
	v_fmac_f32_e32 v11, 0x3f167918, v5
	v_fmamk_f32 v15, v5, 0x3f737871, v56
	v_sub_f32_e32 v16, v7, v4
	v_sub_f32_e32 v18, v23, v17
	v_fmac_f32_e32 v56, 0xbf737871, v5
	v_add_f32_e32 v5, v9, v12
	v_fmac_f32_e32 v13, 0x3e9e377a, v8
	v_fmac_f32_e32 v11, 0x3e9e377a, v8
	v_add_f32_e32 v8, v6, v0
	v_fmac_f32_e32 v15, 0xbf167918, v10
	v_add_f32_e32 v14, v16, v18
	v_fmac_f32_e32 v56, 0x3f167918, v10
	v_fma_f32 v5, -0.5, v5, v3
	v_sub_f32_e32 v4, v4, v17
	v_add_f32_e32 v10, v3, v6
	v_sub_f32_e32 v7, v7, v23
	v_fmac_f32_e32 v3, -0.5, v8
	v_fmac_f32_e32 v15, 0x3e9e377a, v14
	v_fmac_f32_e32 v56, 0x3e9e377a, v14
	v_fmamk_f32 v16, v4, 0x3f737871, v5
	v_sub_f32_e32 v8, v6, v9
	v_sub_f32_e32 v14, v0, v12
	v_fmamk_f32 v17, v7, 0xbf737871, v3
	v_sub_f32_e32 v6, v9, v6
	v_sub_f32_e32 v18, v12, v0
	v_fmac_f32_e32 v3, 0x3f737871, v7
	v_fmac_f32_e32 v5, 0xbf737871, v4
	;; [unrolled: 1-line block ×3, first 2 shown]
	v_add_f32_e32 v8, v8, v14
	v_fmac_f32_e32 v17, 0x3f167918, v4
	v_add_f32_e32 v6, v6, v18
	v_fmac_f32_e32 v3, 0xbf167918, v4
	v_fmac_f32_e32 v5, 0xbf167918, v7
	v_add_f32_e32 v4, v10, v9
	v_fmac_f32_e32 v16, 0x3e9e377a, v8
	v_fmac_f32_e32 v17, 0x3e9e377a, v6
	;; [unrolled: 1-line block ×4, first 2 shown]
	v_add_f32_e32 v4, v4, v12
	v_mul_f32_e32 v6, 0xbf167918, v16
	v_mul_f32_e32 v31, 0x3f4f1bbd, v16
	;; [unrolled: 1-line block ×8, first 2 shown]
	v_add_f32_e32 v29, v4, v0
	v_fmac_f32_e32 v6, 0x3f4f1bbd, v13
	v_fmac_f32_e32 v31, 0x3f167918, v13
	;; [unrolled: 1-line block ×8, first 2 shown]
	v_add_f32_e32 v8, v24, v2
	v_add_f32_e32 v10, v19, v6
	;; [unrolled: 1-line block ×10, first 2 shown]
	v_sub_f32_e32 v18, v24, v2
	v_sub_f32_e32 v0, v19, v6
	;; [unrolled: 1-line block ×7, first 2 shown]
	v_add_nc_u32_e32 v20, 0x400, v107
	v_sub_f32_e32 v4, v22, v23
	v_sub_f32_e32 v5, v28, v53
	;; [unrolled: 1-line block ×3, first 2 shown]
	v_add_nc_u32_e32 v21, 0x800, v107
	ds_write2_b64 v107, v[8:9], v[10:11] offset1:40
	ds_write2_b64 v107, v[12:13], v[14:15] offset0:80 offset1:120
	ds_write2_b64 v107, v[16:17], v[18:19] offset0:160 offset1:200
	ds_write2_b64 v20, v[0:1], v[2:3] offset0:112 offset1:152
	ds_write2_b64 v21, v[4:5], v[6:7] offset0:64 offset1:104
	s_waitcnt lgkmcnt(0)
	s_barrier
	buffer_gl0_inv
	ds_read_b64 v[8:9], v99
	ds_read_b64 v[18:19], v99 offset:3200
	ds_read_b64 v[16:17], v99 offset:6400
	;; [unrolled: 1-line block ×5, first 2 shown]
	s_and_saveexec_b32 s1, s0
	s_cbranch_execz .LBB0_19
; %bb.18:
	ds_read_b64 v[0:1], v99 offset:1920
	ds_read_b64 v[2:3], v99 offset:5120
	;; [unrolled: 1-line block ×6, first 2 shown]
.LBB0_19:
	s_or_b32 exec_lo, exec_lo, s1
	s_waitcnt lgkmcnt(4)
	v_mul_f32_e32 v20, v45, v19
	v_mul_f32_e32 v21, v45, v18
	s_waitcnt lgkmcnt(3)
	v_mul_f32_e32 v22, v47, v17
	v_mul_f32_e32 v23, v47, v16
	v_fmac_f32_e32 v20, v44, v18
	v_fma_f32 v18, v44, v19, -v21
	s_waitcnt lgkmcnt(2)
	v_mul_f32_e32 v19, v41, v15
	v_fmac_f32_e32 v22, v46, v16
	s_waitcnt lgkmcnt(1)
	v_mul_f32_e32 v16, v43, v13
	v_mul_f32_e32 v21, v41, v14
	v_fma_f32 v17, v46, v17, -v23
	v_fmac_f32_e32 v19, v40, v14
	v_mul_f32_e32 v14, v43, v12
	v_fmac_f32_e32 v16, v42, v12
	s_waitcnt lgkmcnt(0)
	v_mul_f32_e32 v12, v90, v11
	v_fma_f32 v15, v40, v15, -v21
	v_mul_f32_e32 v21, v90, v10
	v_fma_f32 v13, v42, v13, -v14
	v_add_f32_e32 v14, v22, v16
	v_fmac_f32_e32 v12, v89, v10
	v_add_f32_e32 v10, v8, v22
	v_fma_f32 v11, v89, v11, -v21
	v_add_f32_e32 v21, v17, v13
	v_fma_f32 v8, -0.5, v14, v8
	v_sub_f32_e32 v14, v17, v13
	v_add_f32_e32 v23, v10, v16
	v_add_f32_e32 v10, v9, v17
	v_fmac_f32_e32 v9, -0.5, v21
	v_sub_f32_e32 v16, v22, v16
	v_fmamk_f32 v17, v14, 0xbf5db3d7, v8
	v_fmac_f32_e32 v8, 0x3f5db3d7, v14
	v_add_f32_e32 v14, v15, v11
	v_add_f32_e32 v21, v10, v13
	v_add_f32_e32 v10, v19, v12
	v_add_f32_e32 v13, v18, v15
	v_fmamk_f32 v22, v16, 0x3f5db3d7, v9
	v_fmac_f32_e32 v18, -0.5, v14
	v_sub_f32_e32 v14, v19, v12
	v_add_f32_e32 v19, v20, v19
	v_fmac_f32_e32 v20, -0.5, v10
	v_sub_f32_e32 v10, v15, v11
	v_fmac_f32_e32 v9, 0xbf5db3d7, v16
	v_fmamk_f32 v15, v14, 0x3f5db3d7, v18
	v_fmac_f32_e32 v18, 0xbf5db3d7, v14
	v_add_f32_e32 v16, v19, v12
	v_fmamk_f32 v12, v10, 0xbf5db3d7, v20
	v_fmac_f32_e32 v20, 0x3f5db3d7, v10
	v_mul_f32_e32 v19, 0xbf5db3d7, v15
	v_mul_f32_e32 v26, 0.5, v15
	v_mul_f32_e32 v24, 0xbf5db3d7, v18
	v_mul_f32_e32 v27, -0.5, v18
	v_add_f32_e32 v25, v13, v11
	v_fmac_f32_e32 v19, 0.5, v12
	v_fmac_f32_e32 v26, 0x3f5db3d7, v12
	v_fmac_f32_e32 v24, -0.5, v20
	v_fmac_f32_e32 v27, 0x3f5db3d7, v20
	v_add_f32_e32 v10, v23, v16
	v_add_f32_e32 v11, v21, v25
	;; [unrolled: 1-line block ×6, first 2 shown]
	v_sub_f32_e32 v16, v23, v16
	v_sub_f32_e32 v18, v17, v19
	;; [unrolled: 1-line block ×6, first 2 shown]
	ds_write_b64 v99, v[10:11]
	ds_write_b64 v99, v[12:13] offset:3200
	ds_write_b64 v99, v[14:15] offset:6400
	;; [unrolled: 1-line block ×5, first 2 shown]
	s_and_saveexec_b32 s1, s0
	s_cbranch_execz .LBB0_21
; %bb.20:
	v_mul_f32_e32 v8, v39, v4
	v_mul_f32_e32 v9, v35, v48
	;; [unrolled: 1-line block ×5, first 2 shown]
	v_fma_f32 v5, v38, v5, -v8
	v_fma_f32 v8, v34, v49, -v9
	v_mul_f32_e32 v9, v33, v7
	v_mul_f32_e32 v13, v88, v51
	v_fma_f32 v7, v32, v7, -v11
	v_mul_f32_e32 v14, v37, v2
	v_fma_f32 v12, v87, v51, -v12
	v_mul_f32_e32 v15, v37, v3
	v_fmac_f32_e32 v9, v32, v6
	v_fmac_f32_e32 v13, v87, v50
	v_fma_f32 v3, v36, v3, -v14
	v_add_f32_e32 v6, v12, v7
	v_mul_f32_e32 v14, v35, v49
	v_fmac_f32_e32 v15, v36, v2
	v_add_f32_e32 v2, v13, v9
	v_fmac_f32_e32 v10, v38, v4
	v_fma_f32 v4, -0.5, v6, v3
	v_sub_f32_e32 v6, v9, v13
	v_fmac_f32_e32 v14, v34, v48
	v_add_f32_e32 v11, v8, v5
	v_fma_f32 v2, -0.5, v2, v15
	v_sub_f32_e32 v16, v7, v12
	v_fmamk_f32 v17, v6, 0xbf5db3d7, v4
	v_fmac_f32_e32 v4, 0x3f5db3d7, v6
	v_add_f32_e32 v21, v14, v10
	v_fma_f32 v11, -0.5, v11, v1
	v_sub_f32_e32 v18, v10, v14
	v_fmamk_f32 v19, v16, 0x3f5db3d7, v2
	v_fmac_f32_e32 v2, 0xbf5db3d7, v16
	v_mul_f32_e32 v16, 0.5, v4
	v_add_f32_e32 v1, v5, v1
	v_add_f32_e32 v3, v3, v7
	;; [unrolled: 1-line block ×4, first 2 shown]
	v_fma_f32 v21, -0.5, v21, v0
	v_sub_f32_e32 v7, v5, v8
	v_mul_f32_e32 v15, 0xbf5db3d7, v4
	v_mul_f32_e32 v6, -0.5, v17
	v_mul_f32_e32 v17, 0xbf5db3d7, v17
	v_fmamk_f32 v20, v18, 0xbf5db3d7, v11
	v_fmac_f32_e32 v11, 0x3f5db3d7, v18
	v_fmac_f32_e32 v16, 0x3f5db3d7, v2
	v_add_f32_e32 v18, v8, v1
	v_add_f32_e32 v8, v12, v3
	v_add_f32_e32 v4, v14, v10
	v_add_f32_e32 v13, v13, v9
	v_fmamk_f32 v12, v7, 0x3f5db3d7, v21
	v_fmac_f32_e32 v21, 0xbf5db3d7, v7
	v_fmac_f32_e32 v15, 0.5, v2
	v_fmac_f32_e32 v6, 0x3f5db3d7, v19
	v_fmac_f32_e32 v17, -0.5, v19
	v_sub_f32_e32 v3, v11, v16
	v_add_f32_e32 v9, v11, v16
	v_add_f32_e32 v11, v8, v18
	;; [unrolled: 1-line block ×3, first 2 shown]
	v_sub_f32_e32 v5, v18, v8
	v_add_f32_e32 v8, v21, v15
	v_sub_f32_e32 v1, v20, v6
	v_add_f32_e32 v7, v20, v6
	v_add_f32_e32 v6, v12, v17
	v_sub_f32_e32 v4, v4, v13
	v_sub_f32_e32 v2, v21, v15
	;; [unrolled: 1-line block ×3, first 2 shown]
	ds_write_b64 v99, v[10:11] offset:1920
	ds_write_b64 v99, v[8:9] offset:5120
	;; [unrolled: 1-line block ×6, first 2 shown]
.LBB0_21:
	s_or_b32 exec_lo, exec_lo, s1
	s_waitcnt lgkmcnt(0)
	s_barrier
	buffer_gl0_inv
	ds_read2_b64 v[0:3], v99 offset1:240
	v_mad_u64_u32 v[16:17], null, s10, v66, 0
	v_mad_u64_u32 v[18:19], null, s8, v102, 0
	v_add_nc_u32_e32 v4, 0x1280, v99
	v_add_nc_u32_e32 v8, 0x2580, v99
	v_add_nc_u32_e32 v12, 0x3800, v99
	ds_read2_b64 v[4:7], v4 offset0:8 offset1:248
	ds_read2_b64 v[8:11], v8 offset1:240
	ds_read2_b64 v[12:15], v12 offset0:8 offset1:248
	v_mad_u64_u32 v[20:21], null, s11, v66, v[17:18]
	s_mov_b32 s2, 0xb4e81b4f
	s_mov_b32 s3, 0x3f3b4e81
	s_mul_i32 s1, s9, 0x258
	v_mad_u64_u32 v[21:22], null, s9, v102, v[19:20]
	s_waitcnt lgkmcnt(3)
	v_mul_f32_e32 v23, v68, v1
	v_mul_f32_e32 v24, v68, v0
	;; [unrolled: 1-line block ×3, first 2 shown]
	v_fmac_f32_e32 v23, v67, v0
	v_fma_f32 v17, v67, v1, -v24
	v_mov_b32_e32 v19, v21
	s_waitcnt lgkmcnt(2)
	v_mul_f32_e32 v21, v82, v4
	s_waitcnt lgkmcnt(1)
	v_mul_f32_e32 v26, v80, v9
	v_cvt_f64_f32_e32 v[0:1], v23
	v_cvt_f64_f32_e32 v[22:23], v17
	v_mov_b32_e32 v17, v20
	v_mul_f32_e32 v20, v82, v5
	v_mul_f32_e32 v27, v80, v8
	;; [unrolled: 1-line block ×3, first 2 shown]
	v_fma_f32 v21, v81, v5, -v21
	v_fmac_f32_e32 v26, v79, v8
	v_fmac_f32_e32 v20, v81, v4
	v_fma_f32 v27, v79, v9, -v27
	v_fmac_f32_e32 v24, v71, v2
	v_fma_f32 v25, v71, v3, -v25
	v_lshlrev_b64 v[2:3], 3, v[16:17]
	v_cvt_f64_f32_e32 v[4:5], v20
	v_cvt_f64_f32_e32 v[8:9], v21
	;; [unrolled: 1-line block ×4, first 2 shown]
	s_waitcnt lgkmcnt(0)
	v_mul_f32_e32 v28, v78, v13
	v_mul_f32_e32 v29, v78, v12
	;; [unrolled: 1-line block ×3, first 2 shown]
	v_lshlrev_b64 v[18:19], 3, v[18:19]
	v_mul_f64 v[0:1], v[0:1], s[2:3]
	v_mul_f64 v[22:23], v[22:23], s[2:3]
	v_fmac_f32_e32 v28, v77, v12
	v_fma_f32 v26, v77, v13, -v29
	v_add_co_u32 v29, s0, s12, v2
	v_fmac_f32_e32 v30, v69, v6
	v_add_co_ci_u32_e64 v31, s0, s13, v3, s0
	v_cvt_f64_f32_e32 v[2:3], v28
	v_cvt_f64_f32_e32 v[26:27], v26
	v_add_co_u32 v18, s0, v29, v18
	v_mul_f32_e32 v6, v70, v6
	v_mul_f32_e32 v29, v74, v10
	;; [unrolled: 1-line block ×3, first 2 shown]
	v_add_co_ci_u32_e64 v19, s0, v31, v19, s0
	v_mul_f32_e32 v31, v76, v14
	v_fma_f32 v6, v69, v7, -v6
	v_fma_f32 v29, v73, v11, -v29
	v_fmac_f32_e32 v28, v73, v10
	v_cvt_f32_f64_e32 v0, v[0:1]
	v_cvt_f32_f64_e32 v1, v[22:23]
	v_cvt_f64_f32_e32 v[22:23], v30
	v_mul_f32_e32 v30, v76, v15
	v_fma_f32 v31, v75, v15, -v31
	v_cvt_f64_f32_e32 v[12:13], v24
	v_cvt_f64_f32_e32 v[24:25], v25
	v_mul_f64 v[16:17], v[16:17], s[2:3]
	v_fmac_f32_e32 v30, v75, v14
	v_mul_f64 v[20:21], v[20:21], s[2:3]
	v_cvt_f64_f32_e32 v[6:7], v6
	v_cvt_f64_f32_e32 v[14:15], v29
	v_mul_f64 v[4:5], v[4:5], s[2:3]
	v_mul_f64 v[8:9], v[8:9], s[2:3]
	v_cvt_f64_f32_e32 v[10:11], v28
	v_cvt_f64_f32_e32 v[28:29], v30
	;; [unrolled: 1-line block ×3, first 2 shown]
	v_mul_f64 v[2:3], v[2:3], s[2:3]
	v_mul_f64 v[26:27], v[26:27], s[2:3]
	s_mul_hi_u32 s0, s8, 0x258
	s_add_i32 s1, s0, s1
	s_mul_i32 s0, s8, 0x258
	global_store_dwordx2 v[18:19], v[0:1], off
	s_lshl_b64 s[4:5], s[0:1], 3
	v_mul_f64 v[22:23], v[22:23], s[2:3]
	s_mul_i32 s1, s9, 0xfffff9e8
	v_mul_f64 v[12:13], v[12:13], s[2:3]
	v_cvt_f32_f64_e32 v16, v[16:17]
	v_cvt_f32_f64_e32 v17, v[20:21]
	v_mul_f64 v[20:21], v[24:25], s[2:3]
	v_mul_f64 v[6:7], v[6:7], s[2:3]
	;; [unrolled: 1-line block ×3, first 2 shown]
	v_cvt_f32_f64_e32 v4, v[4:5]
	v_cvt_f32_f64_e32 v5, v[8:9]
	v_add_co_u32 v8, s0, v18, s4
	v_add_co_ci_u32_e64 v9, s0, s5, v19, s0
	v_mul_f64 v[10:11], v[10:11], s[2:3]
	v_mul_f64 v[24:25], v[28:29], s[2:3]
	;; [unrolled: 1-line block ×3, first 2 shown]
	v_add_co_u32 v30, s0, v8, s4
	v_add_co_ci_u32_e64 v31, s0, s5, v9, s0
	v_cvt_f32_f64_e32 v2, v[2:3]
	v_cvt_f32_f64_e32 v3, v[26:27]
	v_add_co_u32 v26, s0, v30, s4
	v_add_co_ci_u32_e64 v27, s0, s5, v31, s0
	s_mul_hi_u32 s0, s8, 0xfffff9e8
	v_cvt_f32_f64_e32 v12, v[12:13]
	s_sub_i32 s0, s0, s8
	v_cvt_f32_f64_e32 v13, v[20:21]
	s_add_i32 s1, s0, s1
	s_mul_i32 s0, s8, 0xfffff9e8
	v_cvt_f32_f64_e32 v21, v[6:7]
	s_lshl_b64 s[6:7], s[0:1], 3
	v_cvt_f32_f64_e32 v7, v[14:15]
	v_add_co_u32 v14, s0, v26, s6
	v_cvt_f32_f64_e32 v20, v[22:23]
	v_add_co_ci_u32_e64 v15, s0, s7, v27, s0
	v_cvt_f32_f64_e32 v6, v[10:11]
	v_cvt_f32_f64_e32 v10, v[24:25]
	;; [unrolled: 1-line block ×3, first 2 shown]
	v_add_co_u32 v18, s0, v14, s4
	v_add_co_ci_u32_e64 v19, s0, s5, v15, s0
	global_store_dwordx2 v[8:9], v[4:5], off
	v_add_co_u32 v4, s0, v18, s4
	v_add_co_ci_u32_e64 v5, s0, s5, v19, s0
	global_store_dwordx2 v[30:31], v[16:17], off
	;; [unrolled: 3-line block ×3, first 2 shown]
	global_store_dwordx2 v[14:15], v[12:13], off
	global_store_dwordx2 v[18:19], v[20:21], off
	;; [unrolled: 1-line block ×4, first 2 shown]
	s_and_b32 exec_lo, exec_lo, vcc_lo
	s_cbranch_execz .LBB0_23
; %bb.22:
	v_add_co_u32 v2, vcc_lo, 0x800, v100
	v_add_co_ci_u32_e32 v3, vcc_lo, 0, v101, vcc_lo
	v_add_co_u32 v4, vcc_lo, 0x3000, v100
	v_add_co_ci_u32_e32 v5, vcc_lo, 0, v101, vcc_lo
	v_add_co_u32 v6, vcc_lo, 0x4000, v100
	global_load_dwordx2 v[2:3], v[2:3], off offset:1792
	v_add_co_ci_u32_e32 v7, vcc_lo, 0, v101, vcc_lo
	s_clause 0x2
	global_load_dwordx2 v[8:9], v[64:65], off offset:448
	global_load_dwordx2 v[4:5], v[4:5], off offset:1152
	;; [unrolled: 1-line block ×3, first 2 shown]
	ds_read_b64 v[10:11], v99 offset:3840
	ds_read_b64 v[12:13], v99 offset:8640
	;; [unrolled: 1-line block ×4, first 2 shown]
	v_add_co_u32 v0, vcc_lo, v0, s6
	v_add_co_ci_u32_e32 v1, vcc_lo, s7, v1, vcc_lo
	s_waitcnt vmcnt(3) lgkmcnt(3)
	v_mul_f32_e32 v18, v11, v3
	v_mul_f32_e32 v3, v10, v3
	s_waitcnt vmcnt(2) lgkmcnt(2)
	v_mul_f32_e32 v19, v13, v9
	v_mul_f32_e32 v9, v12, v9
	;; [unrolled: 3-line block ×4, first 2 shown]
	v_fmac_f32_e32 v18, v10, v2
	v_fma_f32 v10, v2, v11, -v3
	v_fmac_f32_e32 v19, v12, v8
	v_fma_f32 v8, v8, v13, -v9
	;; [unrolled: 2-line block ×4, first 2 shown]
	v_cvt_f64_f32_e32 v[2:3], v18
	v_cvt_f64_f32_e32 v[4:5], v10
	;; [unrolled: 1-line block ×8, first 2 shown]
	v_mul_f64 v[2:3], v[2:3], s[2:3]
	v_mul_f64 v[4:5], v[4:5], s[2:3]
	;; [unrolled: 1-line block ×8, first 2 shown]
	v_cvt_f32_f64_e32 v2, v[2:3]
	v_cvt_f32_f64_e32 v3, v[4:5]
	;; [unrolled: 1-line block ×8, first 2 shown]
	v_add_co_u32 v10, vcc_lo, v0, s4
	v_add_co_ci_u32_e32 v11, vcc_lo, s5, v1, vcc_lo
	v_add_co_u32 v12, vcc_lo, v10, s4
	v_add_co_ci_u32_e32 v13, vcc_lo, s5, v11, vcc_lo
	;; [unrolled: 2-line block ×3, first 2 shown]
	global_store_dwordx2 v[0:1], v[2:3], off
	global_store_dwordx2 v[10:11], v[4:5], off
	;; [unrolled: 1-line block ×4, first 2 shown]
.LBB0_23:
	s_endpgm
	.section	.rodata,"a",@progbits
	.p2align	6, 0x0
	.amdhsa_kernel bluestein_single_back_len2400_dim1_sp_op_CI_CI
		.amdhsa_group_segment_fixed_size 19200
		.amdhsa_private_segment_fixed_size 0
		.amdhsa_kernarg_size 104
		.amdhsa_user_sgpr_count 6
		.amdhsa_user_sgpr_private_segment_buffer 1
		.amdhsa_user_sgpr_dispatch_ptr 0
		.amdhsa_user_sgpr_queue_ptr 0
		.amdhsa_user_sgpr_kernarg_segment_ptr 1
		.amdhsa_user_sgpr_dispatch_id 0
		.amdhsa_user_sgpr_flat_scratch_init 0
		.amdhsa_user_sgpr_private_segment_size 0
		.amdhsa_wavefront_size32 1
		.amdhsa_uses_dynamic_stack 0
		.amdhsa_system_sgpr_private_segment_wavefront_offset 0
		.amdhsa_system_sgpr_workgroup_id_x 1
		.amdhsa_system_sgpr_workgroup_id_y 0
		.amdhsa_system_sgpr_workgroup_id_z 0
		.amdhsa_system_sgpr_workgroup_info 0
		.amdhsa_system_vgpr_workitem_id 0
		.amdhsa_next_free_vgpr 131
		.amdhsa_next_free_sgpr 16
		.amdhsa_reserve_vcc 1
		.amdhsa_reserve_flat_scratch 0
		.amdhsa_float_round_mode_32 0
		.amdhsa_float_round_mode_16_64 0
		.amdhsa_float_denorm_mode_32 3
		.amdhsa_float_denorm_mode_16_64 3
		.amdhsa_dx10_clamp 1
		.amdhsa_ieee_mode 1
		.amdhsa_fp16_overflow 0
		.amdhsa_workgroup_processor_mode 1
		.amdhsa_memory_ordered 1
		.amdhsa_forward_progress 0
		.amdhsa_shared_vgpr_count 0
		.amdhsa_exception_fp_ieee_invalid_op 0
		.amdhsa_exception_fp_denorm_src 0
		.amdhsa_exception_fp_ieee_div_zero 0
		.amdhsa_exception_fp_ieee_overflow 0
		.amdhsa_exception_fp_ieee_underflow 0
		.amdhsa_exception_fp_ieee_inexact 0
		.amdhsa_exception_int_div_zero 0
	.end_amdhsa_kernel
	.text
.Lfunc_end0:
	.size	bluestein_single_back_len2400_dim1_sp_op_CI_CI, .Lfunc_end0-bluestein_single_back_len2400_dim1_sp_op_CI_CI
                                        ; -- End function
	.section	.AMDGPU.csdata,"",@progbits
; Kernel info:
; codeLenInByte = 11396
; NumSgprs: 18
; NumVgprs: 131
; ScratchSize: 0
; MemoryBound: 0
; FloatMode: 240
; IeeeMode: 1
; LDSByteSize: 19200 bytes/workgroup (compile time only)
; SGPRBlocks: 2
; VGPRBlocks: 16
; NumSGPRsForWavesPerEU: 18
; NumVGPRsForWavesPerEU: 131
; Occupancy: 7
; WaveLimiterHint : 1
; COMPUTE_PGM_RSRC2:SCRATCH_EN: 0
; COMPUTE_PGM_RSRC2:USER_SGPR: 6
; COMPUTE_PGM_RSRC2:TRAP_HANDLER: 0
; COMPUTE_PGM_RSRC2:TGID_X_EN: 1
; COMPUTE_PGM_RSRC2:TGID_Y_EN: 0
; COMPUTE_PGM_RSRC2:TGID_Z_EN: 0
; COMPUTE_PGM_RSRC2:TIDIG_COMP_CNT: 0
	.text
	.p2alignl 6, 3214868480
	.fill 48, 4, 3214868480
	.type	__hip_cuid_26254e7b99b92325,@object ; @__hip_cuid_26254e7b99b92325
	.section	.bss,"aw",@nobits
	.globl	__hip_cuid_26254e7b99b92325
__hip_cuid_26254e7b99b92325:
	.byte	0                               ; 0x0
	.size	__hip_cuid_26254e7b99b92325, 1

	.ident	"AMD clang version 19.0.0git (https://github.com/RadeonOpenCompute/llvm-project roc-6.4.0 25133 c7fe45cf4b819c5991fe208aaa96edf142730f1d)"
	.section	".note.GNU-stack","",@progbits
	.addrsig
	.addrsig_sym __hip_cuid_26254e7b99b92325
	.amdgpu_metadata
---
amdhsa.kernels:
  - .args:
      - .actual_access:  read_only
        .address_space:  global
        .offset:         0
        .size:           8
        .value_kind:     global_buffer
      - .actual_access:  read_only
        .address_space:  global
        .offset:         8
        .size:           8
        .value_kind:     global_buffer
      - .actual_access:  read_only
        .address_space:  global
        .offset:         16
        .size:           8
        .value_kind:     global_buffer
      - .actual_access:  read_only
        .address_space:  global
        .offset:         24
        .size:           8
        .value_kind:     global_buffer
      - .actual_access:  read_only
        .address_space:  global
        .offset:         32
        .size:           8
        .value_kind:     global_buffer
      - .offset:         40
        .size:           8
        .value_kind:     by_value
      - .address_space:  global
        .offset:         48
        .size:           8
        .value_kind:     global_buffer
      - .address_space:  global
        .offset:         56
        .size:           8
        .value_kind:     global_buffer
      - .address_space:  global
        .offset:         64
        .size:           8
        .value_kind:     global_buffer
      - .address_space:  global
        .offset:         72
        .size:           8
        .value_kind:     global_buffer
      - .offset:         80
        .size:           4
        .value_kind:     by_value
      - .address_space:  global
        .offset:         88
        .size:           8
        .value_kind:     global_buffer
      - .address_space:  global
        .offset:         96
        .size:           8
        .value_kind:     global_buffer
    .group_segment_fixed_size: 19200
    .kernarg_segment_align: 8
    .kernarg_segment_size: 104
    .language:       OpenCL C
    .language_version:
      - 2
      - 0
    .max_flat_workgroup_size: 240
    .name:           bluestein_single_back_len2400_dim1_sp_op_CI_CI
    .private_segment_fixed_size: 0
    .sgpr_count:     18
    .sgpr_spill_count: 0
    .symbol:         bluestein_single_back_len2400_dim1_sp_op_CI_CI.kd
    .uniform_work_group_size: 1
    .uses_dynamic_stack: false
    .vgpr_count:     131
    .vgpr_spill_count: 0
    .wavefront_size: 32
    .workgroup_processor_mode: 1
amdhsa.target:   amdgcn-amd-amdhsa--gfx1030
amdhsa.version:
  - 1
  - 2
...

	.end_amdgpu_metadata
